;; amdgpu-corpus repo=ROCm/rocFFT kind=compiled arch=gfx950 opt=O3
	.text
	.amdgcn_target "amdgcn-amd-amdhsa--gfx950"
	.amdhsa_code_object_version 6
	.protected	fft_rtc_back_len832_factors_13_2_2_2_2_2_2_wgs_104_tpt_104_halfLds_sp_ip_CI_sbrr_dirReg ; -- Begin function fft_rtc_back_len832_factors_13_2_2_2_2_2_2_wgs_104_tpt_104_halfLds_sp_ip_CI_sbrr_dirReg
	.globl	fft_rtc_back_len832_factors_13_2_2_2_2_2_2_wgs_104_tpt_104_halfLds_sp_ip_CI_sbrr_dirReg
	.p2align	8
	.type	fft_rtc_back_len832_factors_13_2_2_2_2_2_2_wgs_104_tpt_104_halfLds_sp_ip_CI_sbrr_dirReg,@function
fft_rtc_back_len832_factors_13_2_2_2_2_2_2_wgs_104_tpt_104_halfLds_sp_ip_CI_sbrr_dirReg: ; @fft_rtc_back_len832_factors_13_2_2_2_2_2_2_wgs_104_tpt_104_halfLds_sp_ip_CI_sbrr_dirReg
; %bb.0:
	s_load_dwordx2 s[12:13], s[0:1], 0x18
	s_load_dwordx4 s[4:7], s[0:1], 0x0
	s_load_dwordx2 s[10:11], s[0:1], 0x50
	v_mul_u32_u24_e32 v1, 0x277, v0
	v_add_u32_sdwa v6, s2, v1 dst_sel:DWORD dst_unused:UNUSED_PAD src0_sel:DWORD src1_sel:WORD_1
	s_waitcnt lgkmcnt(0)
	s_load_dwordx2 s[8:9], s[12:13], 0x0
	v_mov_b32_e32 v4, 0
	v_cmp_lt_u64_e64 s[2:3], s[6:7], 2
	v_mov_b32_e32 v7, v4
	s_and_b64 vcc, exec, s[2:3]
	v_mov_b64_e32 v[2:3], 0
	s_cbranch_vccnz .LBB0_8
; %bb.1:
	s_load_dwordx2 s[2:3], s[0:1], 0x10
	s_add_u32 s14, s12, 8
	s_addc_u32 s15, s13, 0
	s_mov_b64 s[16:17], 1
	v_mov_b64_e32 v[2:3], 0
	s_waitcnt lgkmcnt(0)
	s_add_u32 s18, s2, 8
	s_addc_u32 s19, s3, 0
.LBB0_2:                                ; =>This Inner Loop Header: Depth=1
	s_load_dwordx2 s[20:21], s[18:19], 0x0
                                        ; implicit-def: $vgpr8_vgpr9
	s_waitcnt lgkmcnt(0)
	v_or_b32_e32 v5, s21, v7
	v_cmp_ne_u64_e32 vcc, 0, v[4:5]
	s_and_saveexec_b64 s[2:3], vcc
	s_xor_b64 s[22:23], exec, s[2:3]
	s_cbranch_execz .LBB0_4
; %bb.3:                                ;   in Loop: Header=BB0_2 Depth=1
	v_cvt_f32_u32_e32 v1, s20
	v_cvt_f32_u32_e32 v5, s21
	s_sub_u32 s2, 0, s20
	s_subb_u32 s3, 0, s21
	v_fmac_f32_e32 v1, 0x4f800000, v5
	v_rcp_f32_e32 v1, v1
	s_nop 0
	v_mul_f32_e32 v1, 0x5f7ffffc, v1
	v_mul_f32_e32 v5, 0x2f800000, v1
	v_trunc_f32_e32 v5, v5
	v_fmac_f32_e32 v1, 0xcf800000, v5
	v_cvt_u32_f32_e32 v5, v5
	v_cvt_u32_f32_e32 v1, v1
	v_mul_lo_u32 v8, s2, v5
	v_mul_hi_u32 v10, s2, v1
	v_mul_lo_u32 v9, s3, v1
	v_add_u32_e32 v10, v10, v8
	v_mul_lo_u32 v12, s2, v1
	v_add_u32_e32 v13, v10, v9
	v_mul_hi_u32 v8, v1, v12
	v_mul_hi_u32 v11, v1, v13
	v_mul_lo_u32 v10, v1, v13
	v_mov_b32_e32 v9, v4
	v_lshl_add_u64 v[8:9], v[8:9], 0, v[10:11]
	v_mul_hi_u32 v11, v5, v12
	v_mul_lo_u32 v12, v5, v12
	v_add_co_u32_e32 v8, vcc, v8, v12
	v_mul_hi_u32 v10, v5, v13
	s_nop 0
	v_addc_co_u32_e32 v8, vcc, v9, v11, vcc
	v_mov_b32_e32 v9, v4
	s_nop 0
	v_addc_co_u32_e32 v11, vcc, 0, v10, vcc
	v_mul_lo_u32 v10, v5, v13
	v_lshl_add_u64 v[8:9], v[8:9], 0, v[10:11]
	v_add_co_u32_e32 v1, vcc, v1, v8
	v_mul_lo_u32 v10, s2, v1
	s_nop 0
	v_addc_co_u32_e32 v5, vcc, v5, v9, vcc
	v_mul_lo_u32 v8, s2, v5
	v_mul_hi_u32 v9, s2, v1
	v_add_u32_e32 v8, v9, v8
	v_mul_lo_u32 v9, s3, v1
	v_add_u32_e32 v12, v8, v9
	v_mul_hi_u32 v14, v5, v10
	v_mul_lo_u32 v15, v5, v10
	v_mul_hi_u32 v9, v1, v12
	v_mul_lo_u32 v8, v1, v12
	v_mul_hi_u32 v10, v1, v10
	v_mov_b32_e32 v11, v4
	v_lshl_add_u64 v[8:9], v[10:11], 0, v[8:9]
	v_add_co_u32_e32 v8, vcc, v8, v15
	v_mul_hi_u32 v13, v5, v12
	s_nop 0
	v_addc_co_u32_e32 v8, vcc, v9, v14, vcc
	v_mul_lo_u32 v10, v5, v12
	s_nop 0
	v_addc_co_u32_e32 v11, vcc, 0, v13, vcc
	v_mov_b32_e32 v9, v4
	v_lshl_add_u64 v[8:9], v[8:9], 0, v[10:11]
	v_add_co_u32_e32 v1, vcc, v1, v8
	v_mul_hi_u32 v10, v6, v1
	s_nop 0
	v_addc_co_u32_e32 v5, vcc, v5, v9, vcc
	v_mad_u64_u32 v[8:9], s[2:3], v6, v5, 0
	v_mov_b32_e32 v11, v4
	v_lshl_add_u64 v[8:9], v[10:11], 0, v[8:9]
	v_mad_u64_u32 v[12:13], s[2:3], v7, v1, 0
	v_add_co_u32_e32 v1, vcc, v8, v12
	v_mad_u64_u32 v[10:11], s[2:3], v7, v5, 0
	s_nop 0
	v_addc_co_u32_e32 v8, vcc, v9, v13, vcc
	v_mov_b32_e32 v9, v4
	s_nop 0
	v_addc_co_u32_e32 v11, vcc, 0, v11, vcc
	v_lshl_add_u64 v[8:9], v[8:9], 0, v[10:11]
	v_mul_lo_u32 v1, s21, v8
	v_mul_lo_u32 v5, s20, v9
	v_mad_u64_u32 v[10:11], s[2:3], s20, v8, 0
	v_add3_u32 v1, v11, v5, v1
	v_sub_u32_e32 v5, v7, v1
	v_mov_b32_e32 v11, s21
	v_sub_co_u32_e32 v14, vcc, v6, v10
	v_lshl_add_u64 v[12:13], v[8:9], 0, 1
	s_nop 0
	v_subb_co_u32_e64 v5, s[2:3], v5, v11, vcc
	v_subrev_co_u32_e64 v10, s[2:3], s20, v14
	v_subb_co_u32_e32 v1, vcc, v7, v1, vcc
	s_nop 0
	v_subbrev_co_u32_e64 v5, s[2:3], 0, v5, s[2:3]
	v_cmp_le_u32_e64 s[2:3], s21, v5
	v_cmp_le_u32_e32 vcc, s21, v1
	s_nop 0
	v_cndmask_b32_e64 v11, 0, -1, s[2:3]
	v_cmp_le_u32_e64 s[2:3], s20, v10
	s_nop 1
	v_cndmask_b32_e64 v10, 0, -1, s[2:3]
	v_cmp_eq_u32_e64 s[2:3], s21, v5
	s_nop 1
	v_cndmask_b32_e64 v5, v11, v10, s[2:3]
	v_lshl_add_u64 v[10:11], v[8:9], 0, 2
	v_cmp_ne_u32_e64 s[2:3], 0, v5
	s_nop 1
	v_cndmask_b32_e64 v5, v13, v11, s[2:3]
	v_cndmask_b32_e64 v11, 0, -1, vcc
	v_cmp_le_u32_e32 vcc, s20, v14
	s_nop 1
	v_cndmask_b32_e64 v13, 0, -1, vcc
	v_cmp_eq_u32_e32 vcc, s21, v1
	s_nop 1
	v_cndmask_b32_e32 v1, v11, v13, vcc
	v_cmp_ne_u32_e32 vcc, 0, v1
	v_cndmask_b32_e64 v1, v12, v10, s[2:3]
	s_nop 0
	v_cndmask_b32_e32 v9, v9, v5, vcc
	v_cndmask_b32_e32 v8, v8, v1, vcc
.LBB0_4:                                ;   in Loop: Header=BB0_2 Depth=1
	s_andn2_saveexec_b64 s[2:3], s[22:23]
	s_cbranch_execz .LBB0_6
; %bb.5:                                ;   in Loop: Header=BB0_2 Depth=1
	v_cvt_f32_u32_e32 v1, s20
	s_sub_i32 s22, 0, s20
	v_rcp_iflag_f32_e32 v1, v1
	s_nop 0
	v_mul_f32_e32 v1, 0x4f7ffffe, v1
	v_cvt_u32_f32_e32 v1, v1
	v_mul_lo_u32 v5, s22, v1
	v_mul_hi_u32 v5, v1, v5
	v_add_u32_e32 v1, v1, v5
	v_mul_hi_u32 v1, v6, v1
	v_mul_lo_u32 v5, v1, s20
	v_sub_u32_e32 v5, v6, v5
	v_add_u32_e32 v8, 1, v1
	v_subrev_u32_e32 v9, s20, v5
	v_cmp_le_u32_e32 vcc, s20, v5
	s_nop 1
	v_cndmask_b32_e32 v5, v5, v9, vcc
	v_cndmask_b32_e32 v1, v1, v8, vcc
	v_add_u32_e32 v8, 1, v1
	v_cmp_le_u32_e32 vcc, s20, v5
	v_mov_b32_e32 v9, v4
	s_nop 0
	v_cndmask_b32_e32 v8, v1, v8, vcc
.LBB0_6:                                ;   in Loop: Header=BB0_2 Depth=1
	s_or_b64 exec, exec, s[2:3]
	v_mad_u64_u32 v[10:11], s[2:3], v8, s20, 0
	s_load_dwordx2 s[2:3], s[14:15], 0x0
	v_mul_lo_u32 v1, v9, s20
	v_mul_lo_u32 v5, v8, s21
	v_add3_u32 v1, v11, v5, v1
	v_sub_co_u32_e32 v5, vcc, v6, v10
	s_add_u32 s16, s16, 1
	s_nop 0
	v_subb_co_u32_e32 v1, vcc, v7, v1, vcc
	s_addc_u32 s17, s17, 0
	s_waitcnt lgkmcnt(0)
	v_mul_lo_u32 v1, s2, v1
	v_mul_lo_u32 v6, s3, v5
	v_mad_u64_u32 v[2:3], s[2:3], s2, v5, v[2:3]
	s_add_u32 s14, s14, 8
	v_add3_u32 v3, v6, v3, v1
	s_addc_u32 s15, s15, 0
	v_mov_b64_e32 v[6:7], s[6:7]
	s_add_u32 s18, s18, 8
	v_cmp_ge_u64_e32 vcc, s[16:17], v[6:7]
	s_addc_u32 s19, s19, 0
	s_cbranch_vccnz .LBB0_9
; %bb.7:                                ;   in Loop: Header=BB0_2 Depth=1
	v_mov_b64_e32 v[6:7], v[8:9]
	s_branch .LBB0_2
.LBB0_8:
	v_mov_b64_e32 v[8:9], v[6:7]
.LBB0_9:
	s_lshl_b64 s[2:3], s[6:7], 3
	s_add_u32 s2, s12, s2
	s_addc_u32 s3, s13, s3
	s_load_dwordx2 s[6:7], s[2:3], 0x0
	s_load_dwordx2 s[12:13], s[0:1], 0x20
                                        ; implicit-def: $vgpr12
                                        ; implicit-def: $vgpr37
                                        ; implicit-def: $vgpr58
                                        ; implicit-def: $vgpr44
                                        ; implicit-def: $vgpr26
                                        ; implicit-def: $vgpr28
                                        ; implicit-def: $vgpr46
                                        ; implicit-def: $vgpr30
                                        ; implicit-def: $vgpr48
                                        ; implicit-def: $vgpr32
                                        ; implicit-def: $vgpr10
	s_waitcnt lgkmcnt(0)
	v_mad_u64_u32 v[4:5], s[0:1], s6, v8, v[2:3]
	v_mul_lo_u32 v1, s6, v9
	v_mul_lo_u32 v6, s7, v8
	s_mov_b32 s0, 0x2762763
	v_add3_u32 v5, v6, v5, v1
	v_mul_hi_u32 v1, v0, s0
	v_mul_u32_u24_e32 v1, 0x68, v1
	v_sub_u32_e32 v2, v0, v1
	v_cmp_gt_u64_e32 vcc, s[12:13], v[8:9]
	v_cmp_gt_u32_e64 s[0:1], 64, v2
	s_and_b64 s[6:7], vcc, s[0:1]
	v_mov_b32_e32 v9, 0
	v_lshl_add_u64 v[0:1], v[4:5], 3, s[10:11]
	v_mov_b32_e32 v8, 0
                                        ; implicit-def: $vgpr4
                                        ; implicit-def: $vgpr6
	s_and_saveexec_b64 s[2:3], s[6:7]
	s_cbranch_execz .LBB0_11
; %bb.10:
	v_mad_u64_u32 v[4:5], s[6:7], s8, v2, 0
	v_mov_b32_e32 v6, v5
	v_mad_u64_u32 v[6:7], s[6:7], s9, v2, v[6:7]
	v_or_b32_e32 v3, 64, v2
	v_mov_b32_e32 v5, v6
	v_mad_u64_u32 v[6:7], s[6:7], s8, v3, 0
	v_mov_b32_e32 v8, v7
	v_mad_u64_u32 v[8:9], s[6:7], s9, v3, v[8:9]
	v_lshl_add_u64 v[4:5], v[4:5], 3, v[0:1]
	v_mov_b32_e32 v7, v8
	v_or_b32_e32 v3, 0x80, v2
	v_lshl_add_u64 v[6:7], v[6:7], 3, v[0:1]
	global_load_dwordx2 v[8:9], v[4:5], off
	global_load_dwordx2 v[10:11], v[6:7], off
	v_mad_u64_u32 v[4:5], s[6:7], s8, v3, 0
	v_mov_b32_e32 v6, v5
	v_mad_u64_u32 v[6:7], s[6:7], s9, v3, v[6:7]
	v_mov_b32_e32 v5, v6
	v_or_b32_e32 v3, 0xc0, v2
	v_lshl_add_u64 v[12:13], v[4:5], 3, v[0:1]
	v_mad_u64_u32 v[4:5], s[6:7], s8, v3, 0
	v_mov_b32_e32 v6, v5
	v_mad_u64_u32 v[6:7], s[6:7], s9, v3, v[6:7]
	v_mov_b32_e32 v5, v6
	v_or_b32_e32 v3, 0x100, v2
	v_lshl_add_u64 v[14:15], v[4:5], 3, v[0:1]
	v_mad_u64_u32 v[4:5], s[6:7], s8, v3, 0
	v_mov_b32_e32 v6, v5
	v_mad_u64_u32 v[6:7], s[6:7], s9, v3, v[6:7]
	v_mov_b32_e32 v5, v6
	v_lshl_add_u64 v[4:5], v[4:5], 3, v[0:1]
	v_or_b32_e32 v3, 0x140, v2
	global_load_dwordx2 v[58:59], v[4:5], off
	v_mad_u64_u32 v[4:5], s[6:7], s8, v3, 0
	v_mov_b32_e32 v6, v5
	v_mad_u64_u32 v[6:7], s[6:7], s9, v3, v[6:7]
	v_mov_b32_e32 v5, v6
	v_or_b32_e32 v3, 0x180, v2
	v_lshl_add_u64 v[16:17], v[4:5], 3, v[0:1]
	v_mad_u64_u32 v[4:5], s[6:7], s8, v3, 0
	v_mov_b32_e32 v6, v5
	v_mad_u64_u32 v[6:7], s[6:7], s9, v3, v[6:7]
	v_mov_b32_e32 v5, v6
	v_or_b32_e32 v3, 0x1c0, v2
	v_lshl_add_u64 v[18:19], v[4:5], 3, v[0:1]
	v_mad_u64_u32 v[4:5], s[6:7], s8, v3, 0
	v_mov_b32_e32 v6, v5
	v_mad_u64_u32 v[6:7], s[6:7], s9, v3, v[6:7]
	v_mov_b32_e32 v5, v6
	v_lshl_add_u64 v[4:5], v[4:5], 3, v[0:1]
	v_or_b32_e32 v3, 0x200, v2
	global_load_dwordx2 v[36:37], v[4:5], off
	v_mad_u64_u32 v[4:5], s[6:7], s8, v3, 0
	v_mov_b32_e32 v6, v5
	v_mad_u64_u32 v[6:7], s[6:7], s9, v3, v[6:7]
	v_mov_b32_e32 v5, v6
	v_or_b32_e32 v3, 0x240, v2
	v_lshl_add_u64 v[20:21], v[4:5], 3, v[0:1]
	global_load_dwordx2 v[4:5], v[18:19], off
	global_load_dwordx2 v[6:7], v[16:17], off
	v_mad_u64_u32 v[16:17], s[6:7], s8, v3, 0
	v_mov_b32_e32 v18, v17
	v_mad_u64_u32 v[18:19], s[6:7], s9, v3, v[18:19]
	v_or_b32_e32 v3, 0x280, v2
	v_mov_b32_e32 v17, v18
	v_mad_u64_u32 v[18:19], s[6:7], s8, v3, 0
	v_mov_b32_e32 v22, v19
	v_mad_u64_u32 v[22:23], s[6:7], s9, v3, v[22:23]
	v_or_b32_e32 v3, 0x2c0, v2
	v_mov_b32_e32 v19, v22
	v_mad_u64_u32 v[22:23], s[6:7], s8, v3, 0
	v_mov_b32_e32 v24, v23
	v_mad_u64_u32 v[24:25], s[6:7], s9, v3, v[24:25]
	v_or_b32_e32 v3, 0x300, v2
	global_load_dwordx2 v[46:47], v[14:15], off
	global_load_dwordx2 v[48:49], v[12:13], off
	v_mad_u64_u32 v[12:13], s[6:7], s8, v3, 0
	v_mov_b32_e32 v14, v13
	v_mad_u64_u32 v[14:15], s[6:7], s9, v3, v[14:15]
	v_mov_b32_e32 v13, v14
	v_mov_b32_e32 v23, v24
	v_lshl_add_u64 v[12:13], v[12:13], 3, v[0:1]
	v_lshl_add_u64 v[16:17], v[16:17], 3, v[0:1]
	;; [unrolled: 1-line block ×4, first 2 shown]
	global_load_dwordx2 v[44:45], v[12:13], off
	global_load_dwordx2 v[26:27], v[20:21], off
	;; [unrolled: 1-line block ×5, first 2 shown]
	s_waitcnt vmcnt(10)
	v_mov_b32_e32 v12, v59
	s_waitcnt vmcnt(4)
	v_mov_b32_e32 v13, v45
.LBB0_11:
	s_or_b64 exec, exec, s[2:3]
	v_mov_b32_e32 v59, v12
	v_mov_b32_e32 v45, v44
	s_waitcnt vmcnt(0)
	v_pk_add_f32 v[14:15], v[48:49], v[32:33]
	v_pk_add_f32 v[42:43], v[48:49], v[32:33] neg_lo:[0,1] neg_hi:[0,1]
	v_pk_add_f32 v[22:23], v[46:47], v[30:31]
	v_pk_add_f32 v[40:41], v[46:47], v[30:31] neg_lo:[0,1] neg_hi:[0,1]
	;; [unrolled: 2-line block ×5, first 2 shown]
	s_and_saveexec_b64 s[2:3], s[0:1]
	s_cbranch_execz .LBB0_13
; %bb.12:
	v_mov_b32_e32 v54, v41
	v_mov_b32_e32 v55, v22
	s_mov_b32 s13, 0x3df6dbef
	s_mov_b32 s12, 0xbf7e222b
	;; [unrolled: 1-line block ×4, first 2 shown]
	v_mov_b32_e32 v56, v35
	v_mov_b32_e32 v57, v16
	v_pk_mul_f32 v[50:51], v[54:55], s[12:13]
	v_pk_mul_f32 v[52:53], v[56:57], s[10:11]
	v_mov_b32_e32 v3, v50
	v_pk_fma_f32 v[62:63], v[54:55], s[12:13], v[2:3]
	v_mov_b32_e32 v3, v52
	s_mov_b32 s6, 0xbe750f2a
	v_pk_fma_f32 v[60:61], v[56:57], s[10:11], v[2:3]
	v_mov_b32_e32 v56, v21
	v_mov_b32_e32 v57, v18
	s_mov_b32 s7, 0xbf788fa5
	v_pk_mul_f32 v[54:55], v[56:57], s[6:7]
	v_mov_b32_e32 v59, v44
	v_mov_b32_e32 v3, v54
	v_pk_fma_f32 v[64:65], v[56:57], s[6:7], v[2:3]
	v_mov_b32_e32 v57, v8
	v_mov_b32_e32 v56, v8
	v_pk_add_f32 v[66:67], v[56:57], v[10:11]
	s_mov_b32 s16, 0xbf6f5d39
	v_pk_add_f32 v[66:67], v[66:67], v[48:49]
	s_mov_b32 s17, 0xbeb58ec6
	;; [unrolled: 2-line block ×3, first 2 shown]
	v_mov_b32_e32 v67, v10
	v_pk_add_f32 v[58:59], v[66:67], v[58:59]
	s_mov_b32 s18, 0x3f29c268
	s_mov_b32 s26, s16
	;; [unrolled: 1-line block ×3, first 2 shown]
	v_pk_add_f32 v[66:67], v[10:11], v[12:13] neg_lo:[0,1] neg_hi:[0,1]
	s_mov_b32 s21, s10
	s_mov_b32 s24, s18
	;; [unrolled: 1-line block ×4, first 2 shown]
	v_pk_mul_f32 v[68:69], v[66:67], s[26:27] op_sel:[1,0]
	v_mov_b32_e32 v56, v36
	s_mov_b32 s22, s11
	s_mov_b32 s23, s13
	v_pk_fma_f32 v[70:71], v[58:59], s[10:11], v[68:69] op_sel:[1,0,0] neg_lo:[0,0,1] neg_hi:[0,0,1]
	v_pk_mul_f32 v[72:73], v[42:43], s[24:25] op_sel:[1,0]
	s_mov_b32 s19, 0x3eedf032
	s_mov_b32 s34, 0xbf52af12
	v_pk_add_f32 v[70:71], v[56:57], v[70:71] op_sel:[1,0]
	v_pk_fma_f32 v[74:75], v[14:15], s[22:23], v[72:73] op_sel_hi:[0,1,1] neg_lo:[0,0,1] neg_hi:[0,0,1]
	s_mov_b32 s25, 0x3f62ad3f
	s_mov_b32 s35, 0x3f116cb1
	;; [unrolled: 1-line block ×4, first 2 shown]
	v_pk_add_f32 v[70:71], v[70:71], v[74:75]
	s_mov_b32 s30, s25
	s_mov_b32 s31, s35
	v_pk_mul_f32 v[74:75], v[40:41], s[26:27] op_sel:[1,0]
	s_mov_b32 s37, s6
	v_pk_fma_f32 v[76:77], v[22:23], s[30:31], v[74:75] op_sel_hi:[0,1,1] neg_lo:[0,0,1] neg_hi:[0,0,1]
	s_mov_b32 s38, s6
	s_mov_b32 s26, s13
	;; [unrolled: 1-line block ×5, first 2 shown]
	v_pk_add_f32 v[70:71], v[70:71], v[76:77]
	v_pk_mul_f32 v[76:77], v[38:39], s[12:13] op_sel:[1,0]
	s_mov_b32 s40, s7
	v_pk_fma_f32 v[78:79], v[24:25], s[6:7], v[76:77] op_sel_hi:[0,1,1] neg_lo:[0,0,1] neg_hi:[0,0,1]
	v_pk_add_f32 v[70:71], v[70:71], v[78:79]
	v_pk_mul_f32 v[78:79], v[38:39], s[18:19] op_sel:[1,0]
	s_mov_b32 s18, s13
	s_mov_b32 s41, s25
	v_pk_mul_f32 v[80:81], v[34:35], s[18:19] op_sel:[1,0]
	s_mov_b32 s42, 0x3f52af12
	v_pk_fma_f32 v[82:83], v[16:17], s[40:41], v[80:81] op_sel_hi:[0,1,1] neg_lo:[0,0,1] neg_hi:[0,0,1]
	s_mov_b32 s43, s16
	v_pk_add_f32 v[70:71], v[70:71], v[82:83]
	s_mov_b32 s44, s35
	s_mov_b32 s45, s17
	v_pk_mul_f32 v[82:83], v[20:21], s[42:43] op_sel:[1,0]
	v_mad_u32_u24 v96, v2, 52, 0
	v_pk_fma_f32 v[84:85], v[18:19], s[44:45], v[82:83] op_sel_hi:[0,1,1] neg_lo:[0,0,1] neg_hi:[0,0,1]
	v_pk_add_f32 v[70:71], v[70:71], v[84:85]
	ds_write2_b32 v96, v71, v70 offset0:8 offset1:9
	v_mov_b32_e32 v36, v71
	v_mov_b32_e32 v70, v43
	;; [unrolled: 1-line block ×5, first 2 shown]
	v_pk_mul_f32 v[84:85], v[70:71], s[34:35]
	v_pk_mul_f32 v[90:91], v[58:59], v[90:91]
	v_pk_add_f32 v[92:93], v[58:59], v[6:7]
	v_mov_b32_e32 v3, v84
	v_mov_b32_e32 v86, v39
	;; [unrolled: 1-line block ×4, first 2 shown]
	v_mul_f32_e32 v95, 0xbeedf032, v67
	v_mov_b32_e32 v94, v4
	v_pk_fma_f32 v[70:71], v[70:71], s[34:35], v[2:3]
	v_pk_mul_f32 v[88:89], v[86:87], s[16:17]
	v_pk_add_f32 v[92:93], v[92:93], v[94:95]
	v_mov_b32_e32 v3, v88
	v_pk_add_f32 v[92:93], v[92:93], v[56:57]
	v_mov_b32_e32 v70, v26
	v_pk_fma_f32 v[86:87], v[86:87], s[16:17], v[2:3]
	v_pk_add_f32 v[70:71], v[70:71], v[92:93]
	v_mov_b32_e32 v62, v28
	v_pk_add_f32 v[62:63], v[62:63], v[70:71]
	v_mov_b32_e32 v86, v30
	;; [unrolled: 2-line block ×4, first 2 shown]
	v_pk_add_f32 v[60:61], v[64:65], v[60:61]
	s_mov_b32 s46, s34
	s_mov_b32 s47, s12
	ds_write2_b32 v96, v60, v61 offset1:1
	s_mov_b32 s36, s16
	s_mov_b32 s28, s35
	v_pk_mul_f32 v[60:61], v[66:67], s[46:47] op_sel:[1,0]
	s_mov_b32 s42, s17
	s_mov_b32 s43, s7
	v_pk_fma_f32 v[62:63], v[58:59], s[28:29], v[60:61] op_sel:[1,0,0]
	v_pk_mul_f32 v[64:65], v[42:43], s[36:37] op_sel:[1,0]
	v_pk_add_f32 v[62:63], v[56:57], v[62:63] op_sel:[1,0]
	v_pk_fma_f32 v[70:71], v[14:15], s[42:43], v[64:65] op_sel_hi:[0,1,1]
	s_mov_b32 s39, 0x3f6f5d39
	v_pk_add_f32 v[62:63], v[62:63], v[70:71]
	s_mov_b32 s16, s7
	v_pk_mul_f32 v[70:71], v[40:41], s[38:39] op_sel:[1,0]
	s_mov_b32 s24, s11
	v_pk_fma_f32 v[86:87], v[22:23], s[16:17], v[70:71] op_sel_hi:[0,1,1]
	v_pk_add_f32 v[62:63], v[62:63], v[86:87]
	v_pk_fma_f32 v[86:87], v[24:25], s[24:25], v[78:79] op_sel_hi:[0,1,1]
	s_mov_b32 s15, s34
	v_pk_add_f32 v[62:63], v[62:63], v[86:87]
	s_mov_b32 s27, s35
	v_pk_mul_f32 v[86:87], v[34:35], s[14:15] op_sel:[1,0]
	s_mov_b32 s20, s19
	v_pk_fma_f32 v[92:93], v[16:17], s[26:27], v[86:87] op_sel_hi:[0,1,1]
	v_pk_add_f32 v[62:63], v[62:63], v[92:93]
	s_mov_b32 s12, s25
	s_mov_b32 s13, s11
	v_pk_mul_f32 v[92:93], v[20:21], s[20:21] op_sel:[1,0]
	v_pk_fma_f32 v[68:69], v[58:59], s[10:11], v[68:69] op_sel:[1,0,0]
	v_pk_fma_f32 v[94:95], v[18:19], s[12:13], v[92:93] op_sel_hi:[0,1,1]
	v_pk_add_f32 v[62:63], v[62:63], v[94:95]
	ds_write2_b32 v96, v62, v63 offset0:2 offset1:3
	v_pk_fma_f32 v[62:63], v[14:15], s[22:23], v[72:73] op_sel_hi:[0,1,1]
	v_pk_add_f32 v[68:69], v[56:57], v[68:69] op_sel:[1,0]
	v_mul_f32_e32 v4, 0x3f62ad3f, v14
	v_pk_add_f32 v[62:63], v[68:69], v[62:63]
	v_pk_fma_f32 v[68:69], v[22:23], s[30:31], v[74:75] op_sel_hi:[0,1,1]
	v_pk_add_f32 v[62:63], v[62:63], v[68:69]
	v_pk_fma_f32 v[68:69], v[24:25], s[6:7], v[76:77] op_sel_hi:[0,1,1]
	;; [unrolled: 2-line block ×4, first 2 shown]
	v_pk_add_f32 v[62:63], v[62:63], v[68:69]
	v_mul_f32_e32 v6, 0x3eedf032, v43
	ds_write2_b32 v96, v62, v63 offset0:4 offset1:5
	v_pk_add_f32 v[62:63], v[4:5], v[6:7]
	v_pk_add_f32 v[68:69], v[4:5], v[6:7] neg_lo:[0,1] neg_hi:[0,1]
	v_mul_f32_e32 v4, 0xbf3f9e67, v22
	v_mul_f32_e32 v6, 0xbf29c268, v41
	v_mov_b32_e32 v63, v68
	v_pk_add_f32 v[68:69], v[4:5], v[6:7]
	v_pk_add_f32 v[72:73], v[4:5], v[6:7] neg_lo:[0,1] neg_hi:[0,1]
	v_mul_f32_e32 v4, 0x3f116cb1, v24
	v_mul_f32_e32 v6, 0x3f52af12, v39
	v_mov_b32_e32 v69, v72
	;; [unrolled: 5-line block ×5, first 2 shown]
	v_fmac_f32_e32 v91, 0x3eedf032, v67
	v_pk_add_f32 v[66:67], v[6:7], v[4:5]
	v_pk_add_f32 v[80:81], v[6:7], v[4:5] neg_lo:[0,1] neg_hi:[0,1]
	v_pk_fma_f32 v[58:59], v[58:59], s[28:29], v[60:61] op_sel:[1,0,0] neg_lo:[0,0,1] neg_hi:[0,0,1]
	v_mov_b32_e32 v67, v80
	v_pk_add_f32 v[66:67], v[56:57], v[66:67] op_sel:[1,0]
	v_pk_add_f32 v[56:57], v[56:57], v[58:59] op_sel:[1,0]
	v_pk_fma_f32 v[58:59], v[14:15], s[42:43], v[64:65] op_sel_hi:[0,1,1] neg_lo:[0,0,1] neg_hi:[0,0,1]
	v_pk_add_f32 v[62:63], v[66:67], v[62:63]
	v_pk_add_f32 v[56:57], v[56:57], v[58:59]
	v_sub_f32_e32 v3, v85, v84
	v_sub_f32_e32 v4, v51, v50
	v_add_f32_e32 v8, v8, v91
	v_pk_fma_f32 v[50:51], v[22:23], s[16:17], v[70:71] op_sel_hi:[0,1,1] neg_lo:[0,0,1] neg_hi:[0,0,1]
	v_pk_add_f32 v[62:63], v[62:63], v[68:69]
	v_sub_f32_e32 v26, v53, v52
	v_add_f32_e32 v3, v8, v3
	v_pk_fma_f32 v[52:53], v[24:25], s[24:25], v[78:79] op_sel_hi:[0,1,1] neg_lo:[0,0,1] neg_hi:[0,0,1]
	v_pk_add_f32 v[50:51], v[56:57], v[50:51]
	v_pk_add_f32 v[62:63], v[62:63], v[72:73]
	v_sub_f32_e32 v6, v89, v88
	v_sub_f32_e32 v28, v55, v54
	v_add_f32_e32 v3, v3, v4
	v_pk_fma_f32 v[54:55], v[16:17], s[26:27], v[86:87] op_sel_hi:[0,1,1] neg_lo:[0,0,1] neg_hi:[0,0,1]
	v_pk_add_f32 v[50:51], v[50:51], v[52:53]
	v_pk_add_f32 v[62:63], v[62:63], v[74:75]
	v_add_f32_e32 v3, v3, v6
	v_pk_fma_f32 v[58:59], v[18:19], s[12:13], v[92:93] op_sel_hi:[0,1,1] neg_lo:[0,0,1] neg_hi:[0,0,1]
	v_pk_add_f32 v[50:51], v[50:51], v[54:55]
	v_pk_add_f32 v[62:63], v[62:63], v[76:77]
	v_add_f32_e32 v3, v3, v26
	v_pk_add_f32 v[50:51], v[50:51], v[58:59]
	ds_write2_b32 v96, v62, v63 offset0:6 offset1:7
	v_add_f32_e32 v6, v3, v28
	v_mov_b32_e32 v4, v51
	v_mov_b32_e32 v3, v50
	ds_write2_b32 v96, v51, v50 offset0:10 offset1:11
	ds_write_b32 v96, v6 offset:48
.LBB0_13:
	s_or_b64 exec, exec, s[2:3]
	v_lshl_add_u32 v26, v2, 2, 0
	v_add_u32_e32 v6, 0xd0, v2
	v_add_u32_e32 v32, 0x600, v26
	;; [unrolled: 1-line block ×3, first 2 shown]
	v_lshl_add_u32 v28, v6, 2, 0
	v_add_u32_e32 v36, 0x800, v26
	s_waitcnt lgkmcnt(0)
	s_barrier
	ds_read2_b32 v[50:51], v26 offset1:104
	ds_read2_b32 v[52:53], v32 offset0:32 offset1:136
	ds_read2_b32 v[54:55], v36 offset0:112 offset1:216
	v_lshl_add_u32 v30, v4, 2, 0
	ds_read_b32 v56, v28
	ds_read_b32 v3, v30
	s_movk_i32 s22, 0xd0
	s_waitcnt lgkmcnt(0)
	s_barrier
	s_and_saveexec_b64 s[2:3], s[0:1]
	s_cbranch_execz .LBB0_15
; %bb.14:
	v_mov_b32_e32 v8, v37
	v_pk_add_f32 v[58:59], v[8:9], v[10:11]
	v_pk_add_f32 v[44:45], v[10:11], v[44:45] neg_lo:[0,1] neg_hi:[0,1]
	v_pk_add_f32 v[48:49], v[58:59], v[48:49]
	v_mov_b32_e32 v58, v15
	v_pk_add_f32 v[46:47], v[48:49], v[46:47]
	v_mov_b32_e32 v59, v42
	v_mov_b32_e32 v10, v47
	s_mov_b32 s7, 0xbf52af12
	s_mov_b32 s6, 0x3f116cb1
	;; [unrolled: 1-line block ×3, first 2 shown]
	v_pk_add_f32 v[10:11], v[10:11], v[12:13]
	v_mov_b32_e32 v81, 0x3f62ad3f
	v_mov_b32_e32 v80, v7
	v_mul_f32_e32 v49, 0xbeedf032, v44
	v_pk_mul_f32 v[60:61], v[58:59], s[6:7]
	v_mov_b32_e32 v64, v23
	v_mov_b32_e32 v65, v40
	s_mov_b32 s19, 0xbf7e222b
	s_mov_b32 s16, 0xbeb58ec6
	v_pk_add_f32 v[82:83], v[10:11], v[80:81]
	v_mov_b32_e32 v48, v5
	v_mov_b32_e32 v37, v60
	v_pk_mul_f32 v[66:67], v[64:65], s[18:19]
	v_mov_b32_e32 v70, v25
	v_mov_b32_e32 v71, v38
	s_mov_b32 s17, 0xbf6f5d39
	v_pk_add_f32 v[82:83], v[82:83], v[48:49]
	v_pk_fma_f32 v[48:49], v[10:11], v[80:81], v[48:49] neg_lo:[0,0,1] neg_hi:[0,0,1]
	v_pk_fma_f32 v[58:59], v[58:59], s[6:7], v[36:37] neg_lo:[1,0,0] neg_hi:[1,0,0]
	v_mov_b32_e32 v37, v66
	s_mov_b32 s14, 0xbf3f9e67
	s_mov_b32 s15, 0xbf29c268
	v_pk_mul_f32 v[72:73], v[70:71], s[16:17]
	v_mov_b32_e32 v76, v17
	v_mov_b32_e32 v77, v34
	v_pk_mul_f32 v[84:85], v[10:11], v[80:81]
	v_mov_b32_e32 v83, v49
	v_pk_fma_f32 v[64:65], v[64:65], s[18:19], v[36:37] neg_lo:[1,0,0] neg_hi:[1,0,0]
	v_mov_b32_e32 v37, v72
	v_pk_mul_f32 v[78:79], v[76:77], s[14:15]
	v_pk_add_f32 v[48:49], v[82:83], v[8:9]
	v_mov_b32_e32 v58, v27
	v_fmac_f32_e32 v85, 0xbeedf032, v44
	v_add_f32_e32 v57, v60, v61
	v_pk_fma_f32 v[70:71], v[70:71], s[16:17], v[36:37] neg_lo:[1,0,0] neg_hi:[1,0,0]
	v_mov_b32_e32 v37, v78
	v_pk_add_f32 v[48:49], v[58:59], v[48:49]
	v_mov_b32_e32 v64, v29
	v_add_f32_e32 v5, v9, v85
	v_add_f32_e32 v61, v66, v67
	v_pk_fma_f32 v[76:77], v[76:77], s[14:15], v[36:37] neg_lo:[1,0,0] neg_hi:[1,0,0]
	v_pk_add_f32 v[48:49], v[64:65], v[48:49]
	v_mov_b32_e32 v70, v31
	v_add_f32_e32 v5, v5, v57
	s_mov_b32 s1, 0xbe750f2a
	v_add_f32_e32 v63, v72, v73
	v_pk_add_f32 v[48:49], v[70:71], v[48:49]
	v_mov_b32_e32 v76, v33
	s_mov_b32 s0, 0xbf788fa5
	v_add_f32_e32 v5, v5, v61
	v_mov_b32_e32 v70, v19
	v_mov_b32_e32 v71, v20
	v_pk_add_f32 v[48:49], v[76:77], v[48:49]
	v_add_f32_e32 v5, v5, v63
	v_add_f32_e32 v7, v78, v79
	v_pk_mul_f32 v[76:77], v[70:71], s[0:1]
	v_add_f32_e32 v7, v5, v7
	v_mov_b32_e32 v5, v76
	v_pk_fma_f32 v[70:71], v[70:71], s[0:1], v[4:5] neg_lo:[1,0,0] neg_hi:[1,0,0]
	s_mov_b32 s24, s7
	v_mov_b32_e32 v70, v13
	s_mov_b32 s25, s19
	s_mov_b32 s29, 0x3f6f5d39
	;; [unrolled: 1-line block ×3, first 2 shown]
	v_pk_add_f32 v[48:49], v[70:71], v[48:49]
	v_pk_mul_f32 v[70:71], v[44:45], s[24:25] op_sel_hi:[0,1]
	s_mov_b32 s26, s17
	s_mov_b32 s27, s1
	v_pk_mul_f32 v[80:81], v[40:41], s[28:29] op_sel_hi:[0,1]
	s_mov_b32 s28, s6
	s_mov_b32 s29, s18
	v_add_f32_e32 v5, v76, v77
	s_mov_b32 s24, s16
	s_mov_b32 s25, s0
	v_pk_mul_f32 v[76:77], v[42:43], s[26:27] op_sel_hi:[0,1]
	v_pk_fma_f32 v[88:89], v[10:11], s[28:29], v[70:71] op_sel:[1,0,0] neg_lo:[0,0,1] neg_hi:[0,0,1]
	s_mov_b32 s11, 0x3eedf032
	v_pk_fma_f32 v[78:79], v[14:15], s[24:25], v[76:77] op_sel:[1,0,0] neg_lo:[0,0,1] neg_hi:[0,0,1]
	s_mov_b32 s26, s0
	s_mov_b32 s27, s16
	;; [unrolled: 1-line block ×3, first 2 shown]
	v_pk_add_f32 v[88:89], v[8:9], v[88:89] op_sel:[1,0]
	v_pk_fma_f32 v[70:71], v[10:11], s[28:29], v[70:71] op_sel:[1,0,0]
	s_mov_b32 s13, 0x3f62ad3f
	v_pk_fma_f32 v[82:83], v[22:23], s[26:27], v[80:81] op_sel:[1,0,0] neg_lo:[0,0,1] neg_hi:[0,0,1]
	s_mov_b32 s12, s14
	v_pk_mul_f32 v[84:85], v[38:39], s[10:11] op_sel_hi:[0,1]
	v_pk_add_f32 v[78:79], v[88:89], v[78:79]
	s_mov_b32 s34, 0x3f7e222b
	s_mov_b32 s35, s7
	v_pk_fma_f32 v[76:77], v[14:15], s[24:25], v[76:77] op_sel:[1,0,0]
	v_pk_add_f32 v[70:71], v[8:9], v[70:71] op_sel:[1,0]
	v_pk_fma_f32 v[86:87], v[24:25], s[12:13], v[84:85] op_sel:[1,0,0] neg_lo:[0,0,1] neg_hi:[0,0,1]
	v_pk_add_f32 v[78:79], v[78:79], v[82:83]
	s_mov_b32 s30, s18
	s_mov_b32 s31, s6
	v_pk_mul_f32 v[82:83], v[34:35], s[34:35] op_sel_hi:[0,1]
	v_pk_fma_f32 v[80:81], v[22:23], s[26:27], v[80:81] op_sel:[1,0,0]
	v_pk_add_f32 v[70:71], v[70:71], v[76:77]
	v_pk_add_f32 v[78:79], v[78:79], v[86:87]
	v_pk_fma_f32 v[86:87], v[16:17], s[30:31], v[82:83] op_sel:[1,0,0] neg_lo:[0,0,1] neg_hi:[0,0,1]
	s_mov_b32 s38, s11
	s_mov_b32 s39, s15
	v_pk_fma_f32 v[84:85], v[24:25], s[12:13], v[84:85] op_sel:[1,0,0]
	v_pk_add_f32 v[70:71], v[70:71], v[80:81]
	s_mov_b32 s24, s17
	s_mov_b32 s25, s15
	;; [unrolled: 1-line block ×4, first 2 shown]
	v_mul_f32_e32 v46, 0xbe750f2a, v44
	v_mul_f32_e32 v68, 0xbf29c268, v40
	v_pk_add_f32 v[78:79], v[78:79], v[86:87]
	s_mov_b32 s36, s13
	s_mov_b32 s37, s14
	v_pk_mul_f32 v[86:87], v[20:21], s[38:39] op_sel_hi:[0,1]
	v_pk_add_f32 v[70:71], v[70:71], v[84:85]
	v_pk_fma_f32 v[76:77], v[16:17], s[30:31], v[82:83] op_sel:[1,0,0]
	v_pk_mul_f32 v[44:45], v[44:45], s[24:25] op_sel_hi:[0,1]
	s_mov_b32 s15, s18
	s_mov_b32 s24, s10
	;; [unrolled: 1-line block ×3, first 2 shown]
	v_pk_mul_f32 v[40:41], v[40:41], s[26:27] op_sel_hi:[0,1]
	s_mov_b32 s26, s18
	s_mov_b32 s28, s19
	;; [unrolled: 1-line block ×4, first 2 shown]
	v_mul_f32_e32 v62, 0x3eedf032, v42
	v_pk_add_f32 v[70:71], v[70:71], v[76:77]
	v_pk_fma_f32 v[76:77], v[18:19], s[36:37], v[86:87] op_sel:[1,0,0]
	v_pk_mul_f32 v[42:43], v[42:43], s[24:25] op_sel_hi:[0,1]
	v_pk_fma_f32 v[84:85], v[10:11], s[18:19], v[44:45] op_sel:[1,0,0] neg_lo:[0,0,1] neg_hi:[0,0,1]
	v_mul_f32_e32 v12, 0xbf788fa5, v11
	v_pk_add_f32 v[70:71], v[70:71], v[76:77]
	v_pk_fma_f32 v[76:77], v[14:15], s[14:15], v[42:43] op_sel:[1,0,0] neg_lo:[0,0,1] neg_hi:[0,0,1]
	s_mov_b32 s24, s13
	s_mov_b32 s25, s6
	s_mov_b32 s29, 0x3e750f2a
	v_pk_add_f32 v[84:85], v[8:9], v[84:85] op_sel:[1,0]
	v_pk_fma_f32 v[10:11], v[10:11], s[18:19], v[44:45] op_sel:[1,0,0]
	v_mul_f32_e32 v60, 0x3f62ad3f, v15
	v_mul_f32_e32 v74, 0x3f52af12, v38
	v_pk_fma_f32 v[80:81], v[22:23], s[24:25], v[40:41] op_sel:[1,0,0] neg_lo:[0,0,1] neg_hi:[0,0,1]
	s_mov_b32 s27, s0
	v_pk_mul_f32 v[38:39], v[38:39], s[28:29] op_sel_hi:[0,1]
	v_pk_add_f32 v[76:77], v[84:85], v[76:77]
	s_mov_b32 s10, s29
	v_pk_fma_f32 v[14:15], v[14:15], s[14:15], v[42:43] op_sel:[1,0,0]
	v_pk_add_f32 v[10:11], v[8:9], v[10:11] op_sel:[1,0]
	v_mul_f32_e32 v66, 0xbf3f9e67, v23
	v_mul_f32_e32 v64, 0xbf6f5d39, v34
	v_pk_fma_f32 v[82:83], v[24:25], s[26:27], v[38:39] op_sel:[1,0,0] neg_lo:[0,0,1] neg_hi:[0,0,1]
	v_pk_add_f32 v[76:77], v[76:77], v[80:81]
	s_mov_b32 s1, s13
	v_pk_mul_f32 v[34:35], v[34:35], s[10:11] op_sel_hi:[0,1]
	v_pk_fma_f32 v[22:23], v[22:23], s[24:25], v[40:41] op_sel:[1,0,0]
	v_pk_add_f32 v[10:11], v[10:11], v[14:15]
	v_mul_f32_e32 v72, 0x3f116cb1, v25
	s_mov_b32 s20, 0x3f52af12
	v_pk_add_f32 v[76:77], v[76:77], v[82:83]
	v_pk_fma_f32 v[80:81], v[16:17], s[0:1], v[34:35] op_sel:[1,0,0] neg_lo:[0,0,1] neg_hi:[0,0,1]
	s_mov_b32 s21, s17
	v_pk_fma_f32 v[24:25], v[24:25], s[26:27], v[38:39] op_sel:[1,0,0]
	v_pk_add_f32 v[10:11], v[10:11], v[22:23]
	v_pk_add_f32 v[76:77], v[76:77], v[80:81]
	s_mov_b32 s7, s16
	v_pk_mul_f32 v[80:81], v[20:21], s[20:21] op_sel_hi:[0,1]
	v_pk_add_f32 v[10:11], v[10:11], v[24:25]
	v_pk_fma_f32 v[14:15], v[16:17], s[0:1], v[34:35] op_sel:[1,0,0]
	v_pk_fma_f32 v[88:89], v[18:19], s[36:37], v[86:87] op_sel:[1,0,0] neg_lo:[0,0,1] neg_hi:[0,0,1]
	v_pk_add_f32 v[10:11], v[10:11], v[14:15]
	v_pk_fma_f32 v[14:15], v[18:19], s[6:7], v[80:81] op_sel:[1,0,0]
	v_pk_fma_f32 v[82:83], v[18:19], s[6:7], v[80:81] op_sel:[1,0,0] neg_lo:[0,0,1] neg_hi:[0,0,1]
	v_pk_add_f32 v[10:11], v[10:11], v[14:15]
	v_mul_f32_e32 v14, 0x3df6dbef, v19
	v_mul_f32_e32 v16, 0x3f7e222b, v20
	v_pk_add_f32 v[18:19], v[60:61], v[62:63] neg_lo:[0,1] neg_hi:[0,1]
	v_pk_add_f32 v[20:21], v[60:61], v[62:63]
	v_pk_add_f32 v[22:23], v[66:67], v[68:69]
	v_mov_b32_e32 v19, v20
	v_pk_add_f32 v[20:21], v[66:67], v[68:69] neg_lo:[0,1] neg_hi:[0,1]
	v_pk_add_f32 v[24:25], v[72:73], v[74:75]
	v_mov_b32_e32 v21, v22
	v_pk_add_f32 v[22:23], v[72:73], v[74:75] neg_lo:[0,1] neg_hi:[0,1]
	v_mul_f32_e32 v58, 0xbeb58ec6, v17
	v_mov_b32_e32 v23, v24
	v_pk_add_f32 v[24:25], v[12:13], v[46:47] neg_lo:[0,1] neg_hi:[0,1]
	v_pk_add_f32 v[12:13], v[12:13], v[46:47]
	v_add_f32_e32 v7, v7, v5
	v_mov_b32_e32 v25, v12
	v_pk_add_f32 v[8:9], v[8:9], v[24:25] op_sel:[1,0]
	v_pk_add_f32 v[12:13], v[58:59], v[64:65] neg_lo:[0,1] neg_hi:[0,1]
	v_pk_add_f32 v[8:9], v[8:9], v[18:19]
	v_pk_add_f32 v[18:19], v[58:59], v[64:65]
	;; [unrolled: 1-line block ×3, first 2 shown]
	v_mov_b32_e32 v13, v18
	v_pk_add_f32 v[8:9], v[8:9], v[22:23]
	v_pk_add_f32 v[78:79], v[78:79], v[88:89]
	;; [unrolled: 1-line block ×3, first 2 shown]
	v_pk_add_f32 v[12:13], v[14:15], v[16:17] neg_lo:[0,1] neg_hi:[0,1]
	v_pk_add_f32 v[14:15], v[14:15], v[16:17]
	v_pk_add_f32 v[76:77], v[76:77], v[82:83]
	v_mov_b32_e32 v13, v14
	v_pk_add_f32 v[8:9], v[8:9], v[12:13]
	v_mad_u32_u24 v12, v2, 48, v26
	ds_write2_b32 v12, v48, v49 offset1:1
	ds_write2_b32 v12, v78, v79 offset0:2 offset1:3
	ds_write2_b32 v12, v76, v77 offset0:4 offset1:5
	;; [unrolled: 1-line block ×4, first 2 shown]
	v_mov_b32_e32 v5, v70
	ds_write2_b32 v12, v71, v70 offset0:10 offset1:11
	ds_write_b32 v12, v7 offset:48
.LBB0_15:
	s_or_b64 exec, exec, s[2:3]
	v_add_u32_e32 v20, 0x68, v2
	s_movk_i32 s0, 0x4f
	v_mul_lo_u16_sdwa v5, v2, s0 dst_sel:DWORD dst_unused:UNUSED_PAD src0_sel:BYTE_0 src1_sel:DWORD
	v_mul_lo_u16_sdwa v29, v20, s0 dst_sel:DWORD dst_unused:UNUSED_PAD src0_sel:BYTE_0 src1_sel:DWORD
	s_movk_i32 s0, 0x4ec5
	v_lshrrev_b16_e32 v24, 10, v29
	v_mul_u32_u24_sdwa v31, v6, s0 dst_sel:DWORD dst_unused:UNUSED_PAD src0_sel:WORD_0 src1_sel:DWORD
	v_mul_u32_u24_sdwa v37, v4, s0 dst_sel:DWORD dst_unused:UNUSED_PAD src0_sel:WORD_0 src1_sel:DWORD
	v_lshrrev_b16_e32 v7, 10, v5
	v_mul_lo_u16_e32 v9, 13, v24
	v_lshrrev_b32_e32 v33, 18, v31
	v_lshrrev_b32_e32 v35, 18, v37
	v_mul_lo_u16_e32 v8, 13, v7
	v_sub_u16_e32 v25, v20, v9
	v_mul_lo_u16_e32 v9, 13, v33
	v_mul_lo_u16_e32 v13, 13, v35
	v_sub_u16_e32 v21, v2, v8
	v_mov_b32_e32 v27, 3
	v_sub_u16_e32 v34, v6, v9
	v_sub_u16_e32 v38, v4, v13
	v_lshlrev_b32_sdwa v8, v27, v21 dst_sel:DWORD dst_unused:UNUSED_PAD src0_sel:DWORD src1_sel:BYTE_0
	v_lshlrev_b32_sdwa v10, v27, v25 dst_sel:DWORD dst_unused:UNUSED_PAD src0_sel:DWORD src1_sel:BYTE_0
	v_lshlrev_b32_e32 v12, 3, v34
	v_lshlrev_b32_e32 v14, 3, v38
	s_waitcnt lgkmcnt(0)
	s_barrier
	global_load_dwordx2 v[8:9], v8, s[4:5]
	s_mov_b32 s3, 0x5040100
	global_load_dwordx2 v[10:11], v10, s[4:5]
	s_movk_i32 s0, 0x68
	global_load_dwordx2 v[12:13], v12, s[4:5]
	v_perm_b32 v33, v35, v33, s3
	global_load_dwordx2 v[14:15], v14, s[4:5]
	ds_read2_b32 v[16:17], v26 offset1:104
	ds_read2_b32 v[18:19], v32 offset0:32 offset1:136
	ds_read2_b32 v[22:23], v36 offset0:112 offset1:216
	ds_read_b32 v39, v28
	ds_read_b32 v40, v30
	v_mov_b32_e32 v42, 2
	v_pk_mul_lo_u16 v33, v33, s0 op_sel_hi:[1,0]
	v_mul_u32_u24_e32 v7, 0x68, v7
	v_mul_u32_u24_e32 v24, 0x68, v24
	v_lshlrev_b32_sdwa v21, v42, v21 dst_sel:DWORD dst_unused:UNUSED_PAD src0_sel:DWORD src1_sel:BYTE_0
	v_lshlrev_b32_sdwa v25, v42, v25 dst_sel:DWORD dst_unused:UNUSED_PAD src0_sel:DWORD src1_sel:BYTE_0
	v_and_b32_e32 v35, 0xfff8, v33
	v_lshlrev_b32_e32 v34, 2, v34
	v_lshrrev_b32_e32 v33, 16, v33
	v_lshlrev_b32_e32 v38, 2, v38
	v_add3_u32 v7, 0, v7, v21
	v_add3_u32 v21, 0, v24, v25
	;; [unrolled: 1-line block ×4, first 2 shown]
	v_lshrrev_b16_e32 v5, 11, v5
	s_waitcnt lgkmcnt(0)
	s_barrier
	v_lshrrev_b32_e32 v41, 19, v31
	v_lshrrev_b32_e32 v44, 19, v37
	v_cmp_gt_u32_e64 s[0:1], 52, v2
	s_movk_i32 s2, 0x1a0
	s_waitcnt vmcnt(3)
	v_mul_f32_e32 v33, v18, v9
	v_mul_f32_e32 v9, v52, v9
	s_waitcnt vmcnt(2)
	v_mul_f32_e32 v34, v19, v11
	v_mul_f32_e32 v11, v53, v11
	;; [unrolled: 3-line block ×4, first 2 shown]
	v_fmac_f32_e32 v33, v52, v8
	v_fma_f32 v8, v18, v8, -v9
	v_fmac_f32_e32 v34, v53, v10
	v_fma_f32 v9, v19, v10, -v11
	v_fma_f32 v10, v22, v12, -v13
	v_fmac_f32_e32 v38, v55, v14
	v_fmac_f32_e32 v35, v54, v12
	v_fma_f32 v11, v23, v14, -v15
	v_sub_f32_e32 v12, v50, v33
	v_sub_f32_e32 v14, v16, v8
	;; [unrolled: 1-line block ×8, first 2 shown]
	v_fma_f32 v11, v50, 2.0, -v12
	v_fma_f32 v16, v16, 2.0, -v14
	;; [unrolled: 1-line block ×8, first 2 shown]
	ds_write2_b32 v7, v11, v12 offset1:13
	ds_write2_b32 v21, v13, v8 offset1:13
	;; [unrolled: 1-line block ×4, first 2 shown]
	s_waitcnt lgkmcnt(0)
	s_barrier
	ds_read2_b32 v[8:9], v26 offset1:104
	ds_read2_b32 v[10:11], v32 offset0:32 offset1:136
	ds_read2_b32 v[12:13], v36 offset0:112 offset1:216
	ds_read_b32 v3, v28
	ds_read_b32 v40, v30
	s_waitcnt lgkmcnt(0)
	s_barrier
	ds_write2_b32 v7, v16, v14 offset1:13
	ds_write2_b32 v21, v17, v15 offset1:13
	;; [unrolled: 1-line block ×4, first 2 shown]
	v_mul_lo_u16_e32 v7, 26, v5
	v_lshrrev_b16_e32 v21, 11, v29
	v_sub_u16_e32 v7, v2, v7
	v_mul_lo_u16_e32 v15, 26, v21
	v_lshlrev_b32_sdwa v14, v27, v7 dst_sel:DWORD dst_unused:UNUSED_PAD src0_sel:DWORD src1_sel:BYTE_0
	v_sub_u16_e32 v33, v20, v15
	v_mul_lo_u16_e32 v15, 26, v41
	s_waitcnt lgkmcnt(0)
	s_barrier
	v_sub_u16_e32 v43, v6, v15
	global_load_dwordx2 v[14:15], v14, s[4:5] offset:104
	v_lshlrev_b32_sdwa v16, v27, v33 dst_sel:DWORD dst_unused:UNUSED_PAD src0_sel:DWORD src1_sel:BYTE_0
	global_load_dwordx2 v[16:17], v16, s[4:5] offset:104
	v_lshlrev_b32_e32 v18, 3, v43
	v_mul_lo_u16_e32 v19, 26, v44
	v_sub_u16_e32 v45, v4, v19
	global_load_dwordx2 v[18:19], v18, s[4:5] offset:104
	v_lshlrev_b32_e32 v22, 3, v45
	global_load_dwordx2 v[22:23], v22, s[4:5] offset:104
	v_mul_u32_u24_e32 v5, 0xd0, v5
	v_lshlrev_b32_sdwa v7, v42, v7 dst_sel:DWORD dst_unused:UNUSED_PAD src0_sel:DWORD src1_sel:BYTE_0
	v_add3_u32 v5, 0, v5, v7
	ds_read2_b32 v[24:25], v26 offset1:104
	ds_read2_b32 v[34:35], v32 offset0:32 offset1:136
	ds_read2_b32 v[38:39], v36 offset0:112 offset1:216
	ds_read_b32 v7, v28
	ds_read_b32 v46, v30
	v_mul_u32_u24_e32 v21, 0xd0, v21
	s_waitcnt lgkmcnt(0)
	s_barrier
	s_waitcnt vmcnt(3)
	v_mul_f32_e32 v47, v34, v15
	v_mul_f32_e32 v15, v10, v15
	v_fmac_f32_e32 v47, v10, v14
	v_fma_f32 v10, v34, v14, -v15
	v_sub_f32_e32 v14, v8, v47
	s_waitcnt vmcnt(2)
	v_mul_f32_e32 v48, v35, v17
	v_fma_f32 v8, v8, 2.0, -v14
	v_fmac_f32_e32 v48, v11, v16
	ds_write2_b32 v5, v8, v14 offset1:26
	v_lshlrev_b32_sdwa v8, v42, v33 dst_sel:DWORD dst_unused:UNUSED_PAD src0_sel:DWORD src1_sel:BYTE_0
	v_mul_f32_e32 v17, v11, v17
	s_waitcnt vmcnt(1)
	v_mul_f32_e32 v49, v38, v19
	v_sub_f32_e32 v15, v24, v10
	v_sub_f32_e32 v10, v9, v48
	v_add3_u32 v14, 0, v21, v8
	v_perm_b32 v8, v44, v41, s3
	v_fma_f32 v11, v35, v16, -v17
	v_fmac_f32_e32 v49, v12, v18
	v_fma_f32 v9, v9, 2.0, -v10
	v_pk_mul_lo_u16 v8, v8, s22 op_sel_hi:[1,0]
	v_mul_f32_e32 v19, v12, v19
	s_waitcnt vmcnt(0)
	v_mul_f32_e32 v50, v39, v23
	v_sub_f32_e32 v16, v25, v11
	v_sub_f32_e32 v11, v3, v49
	ds_write2_b32 v14, v9, v10 offset1:26
	v_and_b32_e32 v9, 0xfff0, v8
	v_lshlrev_b32_e32 v10, 2, v43
	v_mul_f32_e32 v23, v13, v23
	v_fma_f32 v12, v38, v18, -v19
	v_fmac_f32_e32 v50, v13, v22
	v_fma_f32 v3, v3, 2.0, -v11
	v_add3_u32 v21, 0, v9, v10
	v_fma_f32 v13, v39, v22, -v23
	v_sub_f32_e32 v17, v7, v12
	v_sub_f32_e32 v12, v40, v50
	ds_write2_b32 v21, v3, v11 offset1:26
	v_lshrrev_b32_e32 v3, 16, v8
	v_lshlrev_b32_e32 v8, 2, v45
	v_sub_f32_e32 v18, v46, v13
	v_fma_f32 v19, v24, 2.0, -v15
	v_fma_f32 v13, v40, 2.0, -v12
	v_add3_u32 v3, 0, v3, v8
	v_fma_f32 v22, v25, 2.0, -v16
	v_fma_f32 v7, v7, 2.0, -v17
	;; [unrolled: 1-line block ×3, first 2 shown]
	ds_write2_b32 v3, v13, v12 offset1:26
	s_waitcnt lgkmcnt(0)
	s_barrier
	ds_read2_b32 v[8:9], v26 offset1:104
	ds_read2_b32 v[10:11], v32 offset0:32 offset1:136
	ds_read2_b32 v[12:13], v36 offset0:112 offset1:216
	ds_read_b32 v33, v28
	ds_read_b32 v43, v30
	s_waitcnt lgkmcnt(0)
	s_barrier
	ds_write2_b32 v5, v19, v15 offset1:26
	ds_write2_b32 v14, v22, v16 offset1:26
	;; [unrolled: 1-line block ×4, first 2 shown]
	v_subrev_u32_e32 v3, 52, v2
	v_lshrrev_b16_e32 v5, 12, v29
	v_cndmask_b32_e64 v14, v3, v2, s[0:1]
	v_mov_b32_e32 v3, 0
	v_mul_lo_u16_e32 v7, 52, v5
	v_mov_b32_e32 v15, v3
	v_sub_u16_e32 v7, v20, v7
	v_lshrrev_b32_e32 v21, 20, v31
	v_lshl_add_u64 v[16:17], v[14:15], 3, s[4:5]
	v_lshlrev_b32_sdwa v15, v27, v7 dst_sel:DWORD dst_unused:UNUSED_PAD src0_sel:DWORD src1_sel:BYTE_0
	v_mul_lo_u16_e32 v18, 52, v21
	v_lshrrev_b32_e32 v29, 20, v37
	s_waitcnt lgkmcnt(0)
	s_barrier
	v_sub_u16_e32 v27, v6, v18
	global_load_dwordx2 v[16:17], v[16:17], off offset:312
	v_mul_lo_u16_e32 v23, 52, v29
	global_load_dwordx2 v[18:19], v15, s[4:5] offset:312
	v_sub_u16_e32 v15, v4, v23
	v_lshlrev_b32_e32 v22, 3, v27
	v_lshlrev_b32_e32 v24, 3, v15
	global_load_dwordx2 v[22:23], v22, s[4:5] offset:312
	v_cmp_lt_u32_e64 s[0:1], 51, v2
	global_load_dwordx2 v[24:25], v24, s[4:5] offset:312
	ds_read2_b32 v[34:35], v32 offset0:32 offset1:136
	ds_read2_b32 v[38:39], v26 offset1:104
	ds_read2_b32 v[40:41], v36 offset0:112 offset1:216
	ds_read_b32 v44, v28
	ds_read_b32 v45, v30
	v_mul_u32_u24_e32 v5, 0x1a0, v5
	v_lshlrev_b32_sdwa v7, v42, v7 dst_sel:DWORD dst_unused:UNUSED_PAD src0_sel:DWORD src1_sel:BYTE_0
	v_lshlrev_b32_e32 v14, 2, v14
	v_add3_u32 v5, 0, v5, v7
	v_perm_b32 v7, v29, v21, s3
	v_pk_mul_lo_u16 v7, v7, s2 op_sel_hi:[1,0]
	s_waitcnt lgkmcnt(0)
	s_barrier
	s_waitcnt vmcnt(3)
	v_mul_f32_e32 v46, v34, v17
	v_mul_f32_e32 v17, v10, v17
	s_waitcnt vmcnt(2)
	v_mul_f32_e32 v47, v35, v19
	v_mul_f32_e32 v19, v11, v19
	v_fmac_f32_e32 v46, v10, v16
	v_fma_f32 v10, v34, v16, -v17
	v_fmac_f32_e32 v47, v11, v18
	v_fma_f32 v11, v35, v18, -v19
	v_mov_b32_e32 v35, 0x1a0
	v_sub_f32_e32 v16, v8, v46
	v_sub_f32_e32 v17, v38, v10
	;; [unrolled: 1-line block ×3, first 2 shown]
	v_cndmask_b32_e64 v35, 0, v35, s[0:1]
	s_waitcnt vmcnt(1)
	v_mul_f32_e32 v48, v40, v23
	s_waitcnt vmcnt(0)
	v_mul_f32_e32 v49, v41, v25
	v_fma_f32 v8, v8, 2.0, -v16
	v_fma_f32 v9, v9, 2.0, -v10
	v_add3_u32 v35, 0, v35, v14
	v_mul_f32_e32 v23, v12, v23
	v_mul_f32_e32 v25, v13, v25
	v_fmac_f32_e32 v48, v12, v22
	v_fmac_f32_e32 v49, v13, v24
	ds_write2_b32 v35, v8, v16 offset1:52
	ds_write2_b32 v5, v9, v10 offset1:52
	v_and_b32_e32 v8, 0xffe0, v7
	v_lshlrev_b32_e32 v9, 2, v27
	v_fma_f32 v12, v40, v22, -v23
	v_fma_f32 v13, v41, v24, -v25
	v_sub_f32_e32 v18, v39, v11
	v_sub_f32_e32 v11, v33, v48
	;; [unrolled: 1-line block ×3, first 2 shown]
	v_add3_u32 v8, 0, v8, v9
	v_lshrrev_b32_e32 v7, 16, v7
	v_lshlrev_b32_e32 v9, 2, v15
	v_fma_f32 v19, v38, 2.0, -v17
	v_sub_f32_e32 v23, v44, v12
	v_fma_f32 v12, v33, 2.0, -v11
	v_sub_f32_e32 v33, v45, v13
	v_fma_f32 v13, v43, 2.0, -v25
	v_add3_u32 v7, 0, v7, v9
	v_fma_f32 v22, v39, 2.0, -v18
	v_fma_f32 v24, v44, 2.0, -v23
	;; [unrolled: 1-line block ×3, first 2 shown]
	ds_write2_b32 v8, v12, v11 offset1:52
	ds_write2_b32 v7, v13, v25 offset1:52
	s_waitcnt lgkmcnt(0)
	s_barrier
	ds_read2_b32 v[10:11], v26 offset1:104
	ds_read2_b32 v[12:13], v32 offset0:32 offset1:136
	ds_read2_b32 v[14:15], v36 offset0:112 offset1:216
	ds_read_b32 v21, v28
	ds_read_b32 v27, v30
	s_waitcnt lgkmcnt(0)
	s_barrier
	ds_write2_b32 v35, v19, v17 offset1:52
	ds_write2_b32 v5, v22, v18 offset1:52
	;; [unrolled: 1-line block ×4, first 2 shown]
	v_lshrrev_b32_e32 v5, 21, v31
	v_mul_lo_u16_e32 v5, 0x68, v5
	v_lshrrev_b32_e32 v18, 21, v37
	v_lshl_add_u64 v[8:9], v[2:3], 3, s[4:5]
	v_sub_u16_e32 v5, v6, v5
	v_mul_lo_u16_e32 v18, 0x68, v18
	s_waitcnt lgkmcnt(0)
	s_barrier
	v_lshlrev_b32_e32 v7, 3, v5
	global_load_dwordx2 v[16:17], v[8:9], off offset:728
	v_sub_u16_e32 v29, v4, v18
	global_load_dwordx2 v[18:19], v7, s[4:5] offset:728
	v_lshlrev_b32_e32 v7, 3, v29
	global_load_dwordx2 v[22:23], v7, s[4:5] offset:728
	ds_read2_b32 v[24:25], v32 offset0:32 offset1:136
	ds_read2_b32 v[34:35], v26 offset1:104
	ds_read2_b32 v[38:39], v36 offset0:112 offset1:216
	ds_read_b32 v7, v28
	ds_read_b32 v31, v30
	s_waitcnt lgkmcnt(0)
	s_barrier
	v_lshl_add_u32 v5, v5, 2, 0
	v_add_u32_e32 v5, 0x600, v5
	s_waitcnt vmcnt(2)
	v_mul_f32_e32 v33, v24, v17
	v_mul_f32_e32 v37, v12, v17
	;; [unrolled: 1-line block ×4, first 2 shown]
	s_waitcnt vmcnt(1)
	v_mul_f32_e32 v41, v38, v19
	v_fmac_f32_e32 v33, v12, v16
	v_mul_f32_e32 v19, v14, v19
	s_waitcnt vmcnt(0)
	v_mul_f32_e32 v42, v39, v23
	v_fma_f32 v12, v24, v16, -v37
	v_fmac_f32_e32 v40, v13, v16
	v_fma_f32 v13, v25, v16, -v17
	v_fmac_f32_e32 v41, v14, v18
	v_sub_f32_e32 v16, v10, v33
	v_mul_f32_e32 v23, v15, v23
	v_fma_f32 v14, v38, v18, -v19
	v_fmac_f32_e32 v42, v15, v22
	v_fma_f32 v10, v10, 2.0, -v16
	v_sub_f32_e32 v19, v35, v13
	v_sub_f32_e32 v13, v21, v41
	v_fma_f32 v15, v39, v22, -v23
	v_sub_f32_e32 v17, v34, v12
	v_sub_f32_e32 v12, v11, v40
	;; [unrolled: 1-line block ×3, first 2 shown]
	v_fma_f32 v14, v21, 2.0, -v13
	v_sub_f32_e32 v21, v27, v42
	ds_write2_b32 v26, v10, v16 offset1:104
	v_lshl_add_u32 v10, v29, 2, 0
	v_fma_f32 v18, v34, 2.0, -v17
	v_fma_f32 v11, v11, 2.0, -v12
	v_sub_f32_e32 v24, v31, v15
	v_fma_f32 v15, v27, 2.0, -v21
	v_add_u32_e32 v27, 0x200, v26
	v_add_u32_e32 v16, 0x800, v10
	v_fma_f32 v22, v35, 2.0, -v19
	v_fma_f32 v7, v7, 2.0, -v23
	;; [unrolled: 1-line block ×3, first 2 shown]
	ds_write2_b32 v27, v11, v12 offset0:80 offset1:184
	ds_write2_b32 v5, v14, v13 offset0:32 offset1:136
	;; [unrolled: 1-line block ×3, first 2 shown]
	s_waitcnt lgkmcnt(0)
	s_barrier
	ds_read2_b32 v[10:11], v26 offset1:104
	ds_read2_b32 v[12:13], v32 offset0:32 offset1:136
	ds_read2_b32 v[14:15], v36 offset0:112 offset1:216
	ds_read_b32 v21, v28
	ds_read_b32 v29, v30
	s_waitcnt lgkmcnt(0)
	s_barrier
	ds_write2_b32 v26, v18, v17 offset1:104
	ds_write2_b32 v27, v22, v19 offset0:80 offset1:184
	ds_write2_b32 v5, v7, v23 offset0:32 offset1:136
	;; [unrolled: 1-line block ×3, first 2 shown]
	s_waitcnt lgkmcnt(0)
	s_barrier
	global_load_dwordx2 v[16:17], v[8:9], off offset:1560
	global_load_dwordx2 v[18:19], v[8:9], off offset:2392
	ds_read2_b32 v[22:23], v26 offset1:104
	ds_read2_b32 v[24:25], v32 offset0:32 offset1:136
	ds_read2_b32 v[34:35], v36 offset0:112 offset1:216
	ds_read_b32 v5, v28
	ds_read_b32 v7, v30
	s_waitcnt lgkmcnt(0)
	s_barrier
	s_waitcnt vmcnt(1)
	v_mul_f32_e32 v31, v24, v17
	v_mul_f32_e32 v33, v12, v17
	s_waitcnt vmcnt(0)
	v_mul_f32_e32 v37, v25, v19
	v_mul_f32_e32 v38, v13, v19
	;; [unrolled: 1-line block ×5, first 2 shown]
	v_fmac_f32_e32 v31, v12, v16
	v_fma_f32 v12, v24, v16, -v33
	v_fmac_f32_e32 v37, v13, v18
	v_fma_f32 v13, v25, v18, -v38
	;; [unrolled: 2-line block ×3, first 2 shown]
	v_fmac_f32_e32 v40, v15, v18
	v_mul_f32_e32 v19, v15, v19
	v_sub_f32_e32 v16, v10, v31
	v_sub_f32_e32 v24, v22, v12
	;; [unrolled: 1-line block ×7, first 2 shown]
	v_fma_f32 v15, v35, v18, -v19
	v_fma_f32 v10, v10, 2.0, -v16
	v_fma_f32 v11, v11, 2.0, -v12
	v_fma_f32 v17, v21, 2.0, -v13
	v_fma_f32 v18, v29, 2.0, -v14
	ds_write2_b32 v26, v10, v11 offset1:104
	ds_write2_b32 v27, v16, v12 offset0:80 offset1:184
	ds_write2_b32 v32, v17, v18 offset0:32 offset1:136
	;; [unrolled: 1-line block ×3, first 2 shown]
	s_waitcnt lgkmcnt(0)
	s_barrier
	ds_read2_b32 v[18:19], v26 offset1:104
	ds_read2_b32 v[16:17], v32 offset0:32 offset1:136
	ds_read2_b32 v[12:13], v36 offset0:112 offset1:216
	ds_read_b32 v14, v28
	ds_read_b32 v10, v30
	v_sub_f32_e32 v15, v7, v15
	v_fma_f32 v22, v22, 2.0, -v24
	v_fma_f32 v23, v23, 2.0, -v25
	;; [unrolled: 1-line block ×4, first 2 shown]
	s_waitcnt lgkmcnt(0)
	s_barrier
	ds_write2_b32 v26, v22, v23 offset1:104
	ds_write2_b32 v27, v24, v25 offset0:80 offset1:184
	ds_write2_b32 v32, v5, v7 offset0:32 offset1:136
	;; [unrolled: 1-line block ×3, first 2 shown]
	s_waitcnt lgkmcnt(0)
	s_barrier
	s_and_saveexec_b64 s[0:1], vcc
	s_cbranch_execz .LBB0_17
; %bb.16:
	global_load_dwordx2 v[22:23], v[8:9], off offset:3224
	global_load_dwordx2 v[24:25], v[8:9], off offset:4056
	v_mov_b32_e32 v7, v3
	v_lshl_add_u64 v[6:7], v[6:7], 3, s[4:5]
	global_load_dwordx2 v[6:7], v[6:7], off offset:3224
	v_mov_b32_e32 v5, v3
	v_lshl_add_u64 v[4:5], v[4:5], 3, s[4:5]
	ds_read_b32 v11, v30
	ds_read_b32 v15, v28
	ds_read2_b32 v[8:9], v26 offset1:104
	global_load_dwordx2 v[4:5], v[4:5], off offset:3224
	v_add_u32_e32 v21, 0x800, v26
	v_add_u32_e32 v3, 0x600, v26
	v_mad_u64_u32 v[26:27], s[0:1], s8, v2, 0
	v_add_u32_e32 v29, 0x1a0, v2
	v_mad_u64_u32 v[30:31], s[0:1], s8, v20, 0
	v_add_u32_e32 v33, 0x208, v2
	v_add_u32_e32 v43, 0xd0, v2
	s_mov_b32 s3, 0x4ec4ec4f
	ds_read2_b32 v[36:37], v3 offset0:32 offset1:136
	v_mov_b32_e32 v38, v27
	v_mad_u64_u32 v[40:41], s[0:1], s8, v29, 0
	v_mov_b32_e32 v42, v31
	v_mad_u64_u32 v[44:45], s[0:1], s8, v33, 0
	v_mul_hi_u32 v3, v43, s3
	ds_read2_b32 v[34:35], v21 offset0:112 offset1:216
	v_mad_u64_u32 v[38:39], s[0:1], s9, v2, v[38:39]
	v_mov_b32_e32 v46, v41
	v_mad_u64_u32 v[20:21], s[0:1], s9, v20, v[42:43]
	v_mov_b32_e32 v42, v45
	v_lshrrev_b32_e32 v3, 7, v3
	v_mov_b32_e32 v27, v38
	v_mad_u64_u32 v[38:39], s[0:1], s9, v29, v[46:47]
	v_mov_b32_e32 v31, v20
	v_mad_u64_u32 v[20:21], s[0:1], s9, v33, v[42:43]
	v_mad_u32_u24 v3, v3, s2, v43
	v_mov_b32_e32 v41, v38
	v_mov_b32_e32 v45, v20
	v_mad_u64_u32 v[20:21], s[0:1], s8, v3, 0
	v_add_u32_e32 v33, 0x1a0, v3
	v_lshl_add_u64 v[38:39], v[40:41], 3, v[0:1]
	v_lshl_add_u64 v[40:41], v[44:45], 3, v[0:1]
	v_mov_b32_e32 v42, v21
	v_mad_u64_u32 v[44:45], s[0:1], s8, v33, 0
	v_mad_u64_u32 v[42:43], s[0:1], s9, v3, v[42:43]
	v_mov_b32_e32 v48, v45
	s_waitcnt lgkmcnt(1)
	v_mov_b32_e32 v46, v37
	v_mov_b32_e32 v21, v42
	v_mad_u64_u32 v[42:43], s[0:1], s9, v33, v[48:49]
	v_mov_b32_e32 v28, v18
	v_mov_b32_e32 v18, v17
	;; [unrolled: 1-line block ×6, first 2 shown]
	v_lshl_add_u64 v[26:27], v[26:27], 3, v[0:1]
	v_lshl_add_u64 v[30:31], v[30:31], 3, v[0:1]
	v_add_u32_e32 v2, 0x138, v2
	v_mul_hi_u32 v3, v2, s3
	v_lshl_add_u64 v[20:21], v[20:21], 3, v[0:1]
	v_lshrrev_b32_e32 v3, 7, v3
	s_waitcnt vmcnt(3)
	v_pk_mul_f32 v[36:37], v[36:37], v[22:23] op_sel_hi:[0,1]
	s_waitcnt vmcnt(2)
	v_pk_mul_f32 v[42:43], v[46:47], v[24:25] op_sel_hi:[0,1]
	v_pk_fma_f32 v[46:47], v[16:17], v[22:23], v[36:37] op_sel:[0,0,1] op_sel_hi:[1,1,0]
	v_pk_fma_f32 v[16:17], v[16:17], v[22:23], v[36:37] op_sel:[0,0,1] op_sel_hi:[0,1,0] neg_lo:[1,0,0] neg_hi:[1,0,0]
	v_pk_fma_f32 v[18:19], v[18:19], v[24:25], v[42:43] op_sel:[0,0,1] op_sel_hi:[1,1,0]
	v_pk_fma_f32 v[22:23], v[32:33], v[24:25], v[42:43] op_sel:[0,0,1] op_sel_hi:[0,1,0] neg_lo:[1,0,0] neg_hi:[1,0,0]
	v_mov_b32_e32 v47, v17
	v_mov_b32_e32 v19, v23
	v_pk_add_f32 v[16:17], v[28:29], v[46:47] neg_lo:[0,1] neg_hi:[0,1]
	v_pk_add_f32 v[18:19], v[8:9], v[18:19] neg_lo:[0,1] neg_hi:[0,1]
	v_pk_fma_f32 v[22:23], v[28:29], 2.0, v[16:17] op_sel_hi:[1,0,1] neg_lo:[0,0,1] neg_hi:[0,0,1]
	v_pk_fma_f32 v[8:9], v[8:9], 2.0, v[18:19] op_sel_hi:[1,0,1] neg_lo:[0,0,1] neg_hi:[0,0,1]
	global_store_dwordx2 v[26:27], v[22:23], off
	global_store_dwordx2 v[38:39], v[16:17], off
	;; [unrolled: 1-line block ×4, first 2 shown]
	s_waitcnt vmcnt(5) lgkmcnt(0)
	v_pk_mul_f32 v[16:17], v[34:35], v[6:7] op_sel_hi:[0,1]
	v_pk_fma_f32 v[18:19], v[12:13], v[6:7], v[16:17] op_sel:[0,0,1] op_sel_hi:[1,1,0]
	v_pk_fma_f32 v[6:7], v[12:13], v[6:7], v[16:17] op_sel:[0,0,1] op_sel_hi:[0,1,0] neg_lo:[1,0,0] neg_hi:[1,0,0]
	v_mov_b32_e32 v19, v7
	v_pk_add_f32 v[6:7], v[14:15], v[18:19] neg_lo:[0,1] neg_hi:[0,1]
	v_lshl_add_u64 v[8:9], v[44:45], 3, v[0:1]
	v_pk_fma_f32 v[14:15], v[14:15], 2.0, v[6:7] op_sel_hi:[1,0,1] neg_lo:[0,0,1] neg_hi:[0,0,1]
	global_store_dwordx2 v[20:21], v[14:15], off
	global_store_dwordx2 v[8:9], v[6:7], off
	v_mad_u32_u24 v8, v3, s2, v2
	v_mad_u64_u32 v[2:3], s[0:1], s8, v8, 0
	v_mov_b32_e32 v6, v3
	v_mad_u64_u32 v[6:7], s[0:1], s9, v8, v[6:7]
	v_add_u32_e32 v9, 0x1a0, v8
	v_mov_b32_e32 v3, v6
	v_mad_u64_u32 v[6:7], s[0:1], s8, v9, 0
	v_mov_b32_e32 v8, v7
	v_mad_u64_u32 v[8:9], s[0:1], s9, v9, v[8:9]
	v_mov_b32_e32 v7, v8
	v_lshl_add_u64 v[2:3], v[2:3], 3, v[0:1]
	v_lshl_add_u64 v[0:1], v[6:7], 3, v[0:1]
	v_mov_b32_e32 v6, v35
	s_waitcnt vmcnt(6)
	v_pk_mul_f32 v[6:7], v[6:7], v[4:5] op_sel_hi:[0,1]
	v_mov_b32_e32 v8, v13
	v_mov_b32_e32 v12, v13
	v_pk_fma_f32 v[8:9], v[8:9], v[4:5], v[6:7] op_sel:[0,0,1] op_sel_hi:[1,1,0]
	v_pk_fma_f32 v[4:5], v[12:13], v[4:5], v[6:7] op_sel:[0,0,1] op_sel_hi:[0,1,0] neg_lo:[1,0,0] neg_hi:[1,0,0]
	v_mov_b32_e32 v9, v5
	v_pk_add_f32 v[4:5], v[10:11], v[8:9] neg_lo:[0,1] neg_hi:[0,1]
	s_nop 0
	v_pk_fma_f32 v[6:7], v[10:11], 2.0, v[4:5] op_sel_hi:[1,0,1] neg_lo:[0,0,1] neg_hi:[0,0,1]
	global_store_dwordx2 v[2:3], v[6:7], off
	global_store_dwordx2 v[0:1], v[4:5], off
.LBB0_17:
	s_endpgm
	.section	.rodata,"a",@progbits
	.p2align	6, 0x0
	.amdhsa_kernel fft_rtc_back_len832_factors_13_2_2_2_2_2_2_wgs_104_tpt_104_halfLds_sp_ip_CI_sbrr_dirReg
		.amdhsa_group_segment_fixed_size 0
		.amdhsa_private_segment_fixed_size 0
		.amdhsa_kernarg_size 88
		.amdhsa_user_sgpr_count 2
		.amdhsa_user_sgpr_dispatch_ptr 0
		.amdhsa_user_sgpr_queue_ptr 0
		.amdhsa_user_sgpr_kernarg_segment_ptr 1
		.amdhsa_user_sgpr_dispatch_id 0
		.amdhsa_user_sgpr_kernarg_preload_length 0
		.amdhsa_user_sgpr_kernarg_preload_offset 0
		.amdhsa_user_sgpr_private_segment_size 0
		.amdhsa_uses_dynamic_stack 0
		.amdhsa_enable_private_segment 0
		.amdhsa_system_sgpr_workgroup_id_x 1
		.amdhsa_system_sgpr_workgroup_id_y 0
		.amdhsa_system_sgpr_workgroup_id_z 0
		.amdhsa_system_sgpr_workgroup_info 0
		.amdhsa_system_vgpr_workitem_id 0
		.amdhsa_next_free_vgpr 97
		.amdhsa_next_free_sgpr 48
		.amdhsa_accum_offset 100
		.amdhsa_reserve_vcc 1
		.amdhsa_float_round_mode_32 0
		.amdhsa_float_round_mode_16_64 0
		.amdhsa_float_denorm_mode_32 3
		.amdhsa_float_denorm_mode_16_64 3
		.amdhsa_dx10_clamp 1
		.amdhsa_ieee_mode 1
		.amdhsa_fp16_overflow 0
		.amdhsa_tg_split 0
		.amdhsa_exception_fp_ieee_invalid_op 0
		.amdhsa_exception_fp_denorm_src 0
		.amdhsa_exception_fp_ieee_div_zero 0
		.amdhsa_exception_fp_ieee_overflow 0
		.amdhsa_exception_fp_ieee_underflow 0
		.amdhsa_exception_fp_ieee_inexact 0
		.amdhsa_exception_int_div_zero 0
	.end_amdhsa_kernel
	.text
.Lfunc_end0:
	.size	fft_rtc_back_len832_factors_13_2_2_2_2_2_2_wgs_104_tpt_104_halfLds_sp_ip_CI_sbrr_dirReg, .Lfunc_end0-fft_rtc_back_len832_factors_13_2_2_2_2_2_2_wgs_104_tpt_104_halfLds_sp_ip_CI_sbrr_dirReg
                                        ; -- End function
	.section	.AMDGPU.csdata,"",@progbits
; Kernel info:
; codeLenInByte = 8480
; NumSgprs: 54
; NumVgprs: 97
; NumAgprs: 0
; TotalNumVgprs: 97
; ScratchSize: 0
; MemoryBound: 0
; FloatMode: 240
; IeeeMode: 1
; LDSByteSize: 0 bytes/workgroup (compile time only)
; SGPRBlocks: 6
; VGPRBlocks: 12
; NumSGPRsForWavesPerEU: 54
; NumVGPRsForWavesPerEU: 97
; AccumOffset: 100
; Occupancy: 4
; WaveLimiterHint : 1
; COMPUTE_PGM_RSRC2:SCRATCH_EN: 0
; COMPUTE_PGM_RSRC2:USER_SGPR: 2
; COMPUTE_PGM_RSRC2:TRAP_HANDLER: 0
; COMPUTE_PGM_RSRC2:TGID_X_EN: 1
; COMPUTE_PGM_RSRC2:TGID_Y_EN: 0
; COMPUTE_PGM_RSRC2:TGID_Z_EN: 0
; COMPUTE_PGM_RSRC2:TIDIG_COMP_CNT: 0
; COMPUTE_PGM_RSRC3_GFX90A:ACCUM_OFFSET: 24
; COMPUTE_PGM_RSRC3_GFX90A:TG_SPLIT: 0
	.text
	.p2alignl 6, 3212836864
	.fill 256, 4, 3212836864
	.type	__hip_cuid_ec9d5cd43e3b88c2,@object ; @__hip_cuid_ec9d5cd43e3b88c2
	.section	.bss,"aw",@nobits
	.globl	__hip_cuid_ec9d5cd43e3b88c2
__hip_cuid_ec9d5cd43e3b88c2:
	.byte	0                               ; 0x0
	.size	__hip_cuid_ec9d5cd43e3b88c2, 1

	.ident	"AMD clang version 19.0.0git (https://github.com/RadeonOpenCompute/llvm-project roc-6.4.0 25133 c7fe45cf4b819c5991fe208aaa96edf142730f1d)"
	.section	".note.GNU-stack","",@progbits
	.addrsig
	.addrsig_sym __hip_cuid_ec9d5cd43e3b88c2
	.amdgpu_metadata
---
amdhsa.kernels:
  - .agpr_count:     0
    .args:
      - .actual_access:  read_only
        .address_space:  global
        .offset:         0
        .size:           8
        .value_kind:     global_buffer
      - .offset:         8
        .size:           8
        .value_kind:     by_value
      - .actual_access:  read_only
        .address_space:  global
        .offset:         16
        .size:           8
        .value_kind:     global_buffer
      - .actual_access:  read_only
        .address_space:  global
        .offset:         24
        .size:           8
        .value_kind:     global_buffer
      - .offset:         32
        .size:           8
        .value_kind:     by_value
      - .actual_access:  read_only
        .address_space:  global
        .offset:         40
        .size:           8
        .value_kind:     global_buffer
      - .actual_access:  read_only
        .address_space:  global
        .offset:         48
        .size:           8
        .value_kind:     global_buffer
      - .offset:         56
        .size:           4
        .value_kind:     by_value
      - .actual_access:  read_only
        .address_space:  global
        .offset:         64
        .size:           8
        .value_kind:     global_buffer
      - .actual_access:  read_only
        .address_space:  global
        .offset:         72
        .size:           8
        .value_kind:     global_buffer
      - .address_space:  global
        .offset:         80
        .size:           8
        .value_kind:     global_buffer
    .group_segment_fixed_size: 0
    .kernarg_segment_align: 8
    .kernarg_segment_size: 88
    .language:       OpenCL C
    .language_version:
      - 2
      - 0
    .max_flat_workgroup_size: 104
    .name:           fft_rtc_back_len832_factors_13_2_2_2_2_2_2_wgs_104_tpt_104_halfLds_sp_ip_CI_sbrr_dirReg
    .private_segment_fixed_size: 0
    .sgpr_count:     54
    .sgpr_spill_count: 0
    .symbol:         fft_rtc_back_len832_factors_13_2_2_2_2_2_2_wgs_104_tpt_104_halfLds_sp_ip_CI_sbrr_dirReg.kd
    .uniform_work_group_size: 1
    .uses_dynamic_stack: false
    .vgpr_count:     97
    .vgpr_spill_count: 0
    .wavefront_size: 64
amdhsa.target:   amdgcn-amd-amdhsa--gfx950
amdhsa.version:
  - 1
  - 2
...

	.end_amdgpu_metadata
